;; amdgpu-corpus repo=zjin-lcf/HeCBench kind=compiled arch=gfx1100 opt=O3
	.text
	.amdgcn_target "amdgcn-amd-amdhsa--gfx1100"
	.amdhsa_code_object_version 6
	.protected	_Z14kernel_w_blockPKhS0_Pj ; -- Begin function _Z14kernel_w_blockPKhS0_Pj
	.globl	_Z14kernel_w_blockPKhS0_Pj
	.p2align	8
	.type	_Z14kernel_w_blockPKhS0_Pj,@function
_Z14kernel_w_blockPKhS0_Pj:             ; @_Z14kernel_w_blockPKhS0_Pj
; %bb.0:
	s_load_b32 s4, s[0:1], 0x24
	s_add_u32 s2, s0, 24
	s_addc_u32 s3, s1, 0
	s_waitcnt lgkmcnt(0)
	s_and_b32 s8, s4, 0xffff
	s_mov_b32 s4, exec_lo
	v_mad_u64_u32 v[1:2], null, s15, s8, v[0:1]
	s_delay_alu instid0(VALU_DEP_1)
	v_cmpx_gt_u32_e32 0x100000, v1
	s_cbranch_execz .LBB0_3
; %bb.1:
	s_load_b64 s[10:11], s[0:1], 0x10
	v_mov_b32_e32 v2, 0
	s_load_b32 s2, s[2:3], 0x0
	s_load_b128 s[4:7], s[0:1], 0x0
	s_mov_b32 s3, 0
	s_delay_alu instid0(VALU_DEP_1) | instskip(SKIP_2) | instid1(VALU_DEP_2)
	v_lshlrev_b64 v[3:4], 8, v[1:2]
	v_dual_mov_b32 v18, v2 :: v_dual_mov_b32 v17, v1
	s_waitcnt lgkmcnt(0)
	v_add_co_u32 v0, vcc_lo, v3, s10
	s_delay_alu instid0(VALU_DEP_3) | instskip(SKIP_1) | instid1(VALU_DEP_2)
	v_add_co_ci_u32_e32 v3, vcc_lo, s11, v4, vcc_lo
	s_mul_i32 s2, s2, s8
	v_add_co_u32 v15, vcc_lo, 0xfc, v0
	s_delay_alu instid0(VALU_DEP_2)
	v_add_co_ci_u32_e32 v16, vcc_lo, 0, v3, vcc_lo
	s_lshl_b64 s[8:9], s[2:3], 8
.LBB0_2:                                ; =>This Inner Loop Header: Depth=1
	s_clause 0x3
	global_load_b128 v[3:6], v2, s[4:5]
	global_load_b128 v[11:14], v2, s[6:7]
	global_load_b128 v[7:10], v2, s[6:7] offset:16
	global_load_b64 v[19:20], v2, s[6:7] offset:32
	v_alignbit_b32 v1, v18, v17, 8
	s_waitcnt vmcnt(3)
	v_readfirstlane_b32 s0, v4
	v_readfirstlane_b32 s1, v5
	s_waitcnt vmcnt(2)
	v_readfirstlane_b32 s10, v11
	s_waitcnt vmcnt(1)
	v_readfirstlane_b32 s13, v10
	v_readfirstlane_b32 s12, v13
	s_lshl_b32 s21, s0, 8
	s_lshl_b32 s23, s1, 8
	;; [unrolled: 1-line block ×4, first 2 shown]
	s_lshr_b32 s19, s13, 24
	s_lshl_b32 s20, s0, 24
	s_lshl_b32 s22, s1, 24
	;; [unrolled: 1-line block ×4, first 2 shown]
	s_lshr_b32 s13, s13, 8
	s_and_b32 s21, s21, 0xff0000
	s_and_b32 s23, s23, 0xff0000
	;; [unrolled: 1-line block ×5, first 2 shown]
	s_or_b32 s20, s21, s20
	s_or_b32 s21, s23, s22
	;; [unrolled: 1-line block ×4, first 2 shown]
	s_lshl_b32 s29, s12, 8
	s_or_b32 s13, s25, s13
	s_lshr_b32 s15, s1, 24
	s_lshr_b32 s16, s10, 24
	;; [unrolled: 1-line block ×5, first 2 shown]
	s_lshl_b32 s28, s12, 24
	s_lshr_b32 s12, s12, 8
	s_and_b32 s29, s29, 0xff0000
	v_readfirstlane_b32 s11, v12
	v_lshrrev_b32_e32 v12, 24, v7
	v_lshlrev_b32_e32 v26, 8, v6
	v_lshlrev_b32_e32 v28, 8, v14
	;; [unrolled: 1-line block ×4, first 2 shown]
	v_lshrrev_b32_e32 v7, 8, v7
	v_lshlrev_b32_e32 v32, 8, v8
	s_or_b32 s13, s13, s19
	v_lshlrev_b32_e32 v5, 8, v3
	s_and_b32 s1, s1, 0xff00
	s_and_b32 s10, s10, 0xff00
	;; [unrolled: 1-line block ×3, first 2 shown]
	s_or_b32 s24, s29, s28
	s_or_b32 s1, s21, s1
	;; [unrolled: 1-line block ×4, first 2 shown]
	s_lshr_b32 s14, s0, 24
	s_lshr_b32 s0, s0, 8
	v_lshlrev_b32_e32 v27, 24, v14
	v_lshlrev_b32_e32 v31, 24, v8
	v_and_b32_e32 v5, 0xff0000, v5
	v_and_b32_e32 v26, 0xff0000, v26
	;; [unrolled: 1-line block ×5, first 2 shown]
	s_or_b32 s1, s1, s15
	v_and_b32_e32 v0, 0xffff, v17
	s_or_b32 s10, s10, s16
	v_lshlrev_b32_e32 v4, 24, v3
	s_or_b32 s12, s12, s18
	v_lshlrev_b32_e32 v10, 24, v6
	s_and_b32 s0, s0, 0xff00
	s_lshl_b32 s27, s11, 8
	s_or_b32 s0, s20, s0
	s_lshr_b32 s17, s11, 24
	s_lshl_b32 s26, s11, 24
	s_lshr_b32 s11, s11, 8
	s_and_b32 s27, s27, 0xff0000
	v_or_b32_e32 v4, v5, v4
	v_or_b32_e32 v5, v26, v10
	;; [unrolled: 1-line block ×4, first 2 shown]
	s_or_b32 s0, s0, s14
	v_and_b32_e32 v1, 0xffffff00, v1
	v_mov_b32_e32 v7, s1
	v_perm_b32 v0, 0, v0, 0x10203
	s_and_b32 s11, s11, 0xff00
	s_or_b32 s23, s27, s26
	v_lshrrev_b32_e32 v23, 24, v9
	s_or_b32 s11, s23, s11
	v_lshlrev_b32_e32 v33, 24, v9
	s_or_b32 s11, s11, s17
	v_add_nc_u32_e32 v1, v0, v1
	v_lshlrev_b32_e32 v34, 8, v9
	v_lshrrev_b32_e32 v9, 8, v9
	s_waitcnt vmcnt(0)
	v_lshlrev_b32_e32 v36, 8, v19
	v_lshlrev_b32_e32 v38, 8, v20
	v_lshrrev_b32_e32 v0, 7, v1
	v_alignbit_b32 v21, v1, v1, 18
	v_lshrrev_b32_e32 v22, 3, v1
	v_lshrrev_b32_e32 v11, 24, v14
	;; [unrolled: 1-line block ×5, first 2 shown]
	v_xor3_b32 v0, v0, v21, v22
	v_lshrrev_b32_e32 v21, 24, v3
	v_lshrrev_b32_e32 v22, 24, v6
	;; [unrolled: 1-line block ×6, first 2 shown]
	v_lshlrev_b32_e32 v35, 24, v19
	v_lshrrev_b32_e32 v19, 8, v19
	v_lshlrev_b32_e32 v37, 24, v20
	v_lshrrev_b32_e32 v20, 8, v20
	v_and_b32_e32 v30, 0xff0000, v30
	v_and_b32_e32 v32, 0xff0000, v34
	;; [unrolled: 1-line block ×11, first 2 shown]
	v_or_b32_e32 v26, v30, v29
	v_or_b32_e32 v28, v32, v33
	;; [unrolled: 1-line block ×5, first 2 shown]
	v_mov_b32_e32 v4, s11
	v_or_b32_e32 v32, v5, v6
	v_or_b32_e32 v10, v10, v14
	;; [unrolled: 1-line block ×7, first 2 shown]
	v_alignbit_b32 v30, s0, s0, 7
	v_alignbit_b32 v33, s0, s0, 18
	;; [unrolled: 1-line block ×4, first 2 shown]
	v_mov_b32_e32 v6, s0
	v_alignbit_b32 v38, s11, s11, 7
	v_alignbit_b32 v39, s11, s11, 18
	;; [unrolled: 1-line block ×4, first 2 shown]
	v_or_b32_e32 v5, v31, v21
	v_or_b32_e32 v8, v32, v22
	;; [unrolled: 1-line block ×8, first 2 shown]
	v_xor_b32_e32 v13, v30, v33
	v_xor_b32_e32 v23, v34, v35
	v_mov_b32_e32 v3, s10
	v_dual_mov_b32 v9, s12 :: v_dual_mov_b32 v20, s13
	s_lshr_b32 s14, s0, 3
	s_lshr_b32 s15, s1, 3
	v_alignbit_b32 v36, s10, s10, 7
	v_alignbit_b32 v37, s10, s10, 18
	v_lshrrev_b32_e32 v14, 10, v28
	v_lshrrev_b32_e32 v24, 10, v29
	v_xor_b32_e32 v26, v38, v39
	v_xor_b32_e32 v27, v40, v41
	s_clause 0x3
	global_store_b128 v[15:16], v[5:8], off offset:-252
	global_store_b128 v[15:16], v[1:4], off offset:-236
	;; [unrolled: 1-line block ×4, first 2 shown]
	v_xor_b32_e32 v3, s14, v13
	v_alignbit_b32 v6, v21, v21, 19
	v_xor_b32_e32 v7, s15, v23
	v_alignbit_b32 v13, v22, v22, 19
	v_alignbit_b32 v20, v8, v8, 7
	;; [unrolled: 1-line block ×3, first 2 shown]
	s_lshr_b32 s17, s11, 3
	s_lshr_b32 s18, s12, 3
	v_alignbit_b32 v42, s13, s13, 7
	v_alignbit_b32 v43, s13, s13, 18
	v_xor_b32_e32 v25, v36, v37
	v_alignbit_b32 v4, v21, v21, 17
	v_alignbit_b32 v9, v22, v22, 17
	v_lshrrev_b32_e32 v29, 3, v8
	v_xor_b32_e32 v26, s17, v26
	v_xor_b32_e32 v27, s18, v27
	v_alignbit_b32 v30, v10, v10, 7
	v_alignbit_b32 v31, v10, v10, 18
	;; [unrolled: 1-line block ×8, first 2 shown]
	v_xor_b32_e32 v6, v6, v14
	v_add_nc_u32_e32 v3, v3, v5
	v_xor_b32_e32 v5, v13, v24
	v_add_nc_u32_e32 v7, s0, v7
	v_xor_b32_e32 v13, v20, v23
	v_xor_b32_e32 v28, v42, v43
	v_lshrrev_b32_e32 v32, 3, v10
	v_lshrrev_b32_e32 v35, 3, v11
	;; [unrolled: 1-line block ×4, first 2 shown]
	v_alignbit_b32 v42, v21, v21, 7
	v_alignbit_b32 v43, v21, v21, 18
	;; [unrolled: 1-line block ×4, first 2 shown]
	v_add_nc_u32_e32 v14, s10, v26
	v_add_nc_u32_e32 v20, s11, v27
	v_xor_b32_e32 v23, v30, v31
	v_xor_b32_e32 v24, v33, v34
	;; [unrolled: 1-line block ×5, first 2 shown]
	v_add_nc_u32_e32 v3, v3, v10
	v_xor_b32_e32 v5, v5, v9
	v_add_nc_u32_e32 v6, v7, v11
	v_xor_b32_e32 v7, v13, v29
	v_lshrrev_b32_e32 v44, 3, v21
	v_lshrrev_b32_e32 v47, 3, v22
	v_xor_b32_e32 v30, v42, v43
	v_xor_b32_e32 v31, v45, v46
	;; [unrolled: 1-line block ×6, first 2 shown]
	v_add_nc_u32_e32 v3, v3, v4
	v_add_nc_u32_e32 v4, v6, v5
	;; [unrolled: 1-line block ×3, first 2 shown]
	v_xor_b32_e32 v26, v30, v44
	v_xor_b32_e32 v27, v31, v47
	v_add_nc_u32_e32 v13, v13, v10
	v_add_nc_u32_e32 v11, v23, v11
	;; [unrolled: 1-line block ×3, first 2 shown]
	v_alignbit_b32 v6, v3, v3, 17
	v_alignbit_b32 v7, v3, v3, 19
	v_add_nc_u32_e32 v5, v5, v12
	v_alignbit_b32 v10, v4, v4, 17
	v_alignbit_b32 v12, v4, v4, 19
	v_add_nc_u32_e32 v29, s12, v9
	v_add_nc_u32_e32 v24, s13, v26
	;; [unrolled: 1-line block ×3, first 2 shown]
	v_lshrrev_b32_e32 v9, 10, v3
	v_lshrrev_b32_e32 v27, 10, v4
	v_alignbit_b32 v30, v3, v3, 7
	v_alignbit_b32 v31, v3, v3, 18
	v_xor_b32_e32 v10, v10, v12
	v_xor_b32_e32 v6, v6, v7
	v_lshrrev_b32_e32 v32, 3, v3
	v_alignbit_b32 v33, v4, v4, 7
	v_alignbit_b32 v34, v4, v4, 18
	v_xor_b32_e32 v7, v30, v31
	v_xor_b32_e32 v10, v10, v27
	;; [unrolled: 1-line block ×3, first 2 shown]
	v_lshrrev_b32_e32 v35, 3, v4
	v_xor_b32_e32 v12, v33, v34
	v_xor_b32_e32 v7, v7, v32
	v_add_nc_u32_e32 v10, v10, v19
	v_add_nc_u32_e32 v5, v5, v6
	s_lshr_b32 s19, s13, 3
	v_xor_b32_e32 v9, v12, v35
	v_xor_b32_e32 v28, s19, v28
	v_add_nc_u32_e32 v12, v7, v22
	v_add3_u32 v6, v10, v8, v0
	v_alignbit_b32 v0, v5, v5, 17
	v_alignbit_b32 v7, v5, v5, 19
	v_add_nc_u32_e32 v28, v28, v19
	v_add_nc_u32_e32 v19, v9, v3
	v_lshrrev_b32_e32 v8, 10, v5
	v_alignbit_b32 v9, v5, v5, 7
	v_alignbit_b32 v10, v5, v5, 18
	v_xor_b32_e32 v0, v0, v7
	v_alignbit_b32 v7, v6, v6, 17
	v_alignbit_b32 v30, v6, v6, 19
	v_lshrrev_b32_e32 v31, 10, v6
	s_lshr_b32 s16, s10, 3
	v_lshrrev_b32_e32 v27, 3, v5
	v_xor_b32_e32 v25, s16, v25
	v_xor_b32_e32 v9, v9, v10
	v_alignbit_b32 v10, v6, v6, 7
	v_alignbit_b32 v32, v6, v6, 18
	v_xor_b32_e32 v0, v0, v8
	v_xor3_b32 v8, v7, v30, v31
	v_lshrrev_b32_e32 v33, 3, v6
	v_xor_b32_e32 v9, v9, v27
	v_xor_b32_e32 v10, v10, v32
	v_add3_u32 v7, v0, s13, v1
	v_add3_u32 v8, v21, v25, v8
	v_add_co_u32 v17, vcc_lo, v17, s2
	v_add_nc_u32_e32 v0, v9, v4
	v_xad_u32 v1, v10, v33, v5
	v_alignbit_b32 v9, v7, v7, 17
	v_alignbit_b32 v10, v7, v7, 19
	v_lshrrev_b32_e32 v21, 10, v7
	v_alignbit_b32 v25, v8, v8, 17
	v_alignbit_b32 v27, v8, v8, 19
	v_lshrrev_b32_e32 v30, 10, v8
	v_alignbit_b32 v31, v7, v7, 7
	v_alignbit_b32 v32, v7, v7, 18
	;; [unrolled: 1-line block ×4, first 2 shown]
	v_xor3_b32 v9, v9, v10, v21
	v_xor3_b32 v10, v25, v27, v30
	v_lshrrev_b32_e32 v33, 3, v7
	v_lshrrev_b32_e32 v36, 3, v8
	v_xor_b32_e32 v21, v31, v32
	v_xor_b32_e32 v25, v34, v35
	v_add3_u32 v9, v14, v22, v9
	v_add3_u32 v10, v20, v3, v10
	s_clause 0x1
	global_store_b128 v[15:16], v[3:6], off offset:-188
	global_store_b128 v[15:16], v[7:10], off offset:-172
	v_xad_u32 v14, v21, v33, v6
	v_xad_u32 v20, v25, v36, v7
	v_alignbit_b32 v3, v9, v9, 17
	v_alignbit_b32 v21, v9, v9, 19
	v_lshrrev_b32_e32 v22, 10, v9
	v_alignbit_b32 v25, v10, v10, 17
	v_alignbit_b32 v27, v10, v10, 19
	v_lshrrev_b32_e32 v30, 10, v10
	v_alignbit_b32 v31, v9, v9, 7
	v_alignbit_b32 v32, v9, v9, 18
	;; [unrolled: 1-line block ×4, first 2 shown]
	v_xor3_b32 v3, v3, v21, v22
	v_xor3_b32 v21, v25, v27, v30
	v_lshrrev_b32_e32 v33, 3, v9
	v_lshrrev_b32_e32 v36, 3, v10
	v_xor_b32_e32 v22, v31, v32
	v_xor_b32_e32 v25, v34, v35
	v_add3_u32 v3, v29, v4, v3
	v_add3_u32 v4, v13, v5, v21
	v_add_co_ci_u32_e32 v18, vcc_lo, 0, v18, vcc_lo
	v_xad_u32 v13, v22, v33, v8
	v_xad_u32 v21, v25, v36, v9
	v_alignbit_b32 v5, v3, v3, 17
	v_alignbit_b32 v22, v3, v3, 19
	v_lshrrev_b32_e32 v25, 10, v3
	v_alignbit_b32 v27, v4, v4, 17
	v_alignbit_b32 v29, v4, v4, 19
	v_lshrrev_b32_e32 v30, 10, v4
	v_alignbit_b32 v31, v3, v3, 7
	v_alignbit_b32 v32, v3, v3, 18
	;; [unrolled: 1-line block ×4, first 2 shown]
	v_xor3_b32 v5, v5, v22, v25
	v_xor3_b32 v22, v27, v29, v30
	v_lshrrev_b32_e32 v33, 3, v3
	v_lshrrev_b32_e32 v36, 3, v4
	v_xor_b32_e32 v25, v31, v32
	v_xor_b32_e32 v27, v34, v35
	v_add3_u32 v5, v11, v6, v5
	v_add3_u32 v6, v23, v7, v22
	v_cmp_lt_u64_e32 vcc_lo, 0xfffff, v[17:18]
	v_xad_u32 v11, v25, v33, v10
	v_xad_u32 v22, v27, v36, v3
	v_alignbit_b32 v7, v5, v5, 17
	v_alignbit_b32 v23, v5, v5, 19
	v_lshrrev_b32_e32 v25, 10, v5
	v_alignbit_b32 v27, v6, v6, 17
	v_alignbit_b32 v29, v6, v6, 19
	v_lshrrev_b32_e32 v30, 10, v6
	v_alignbit_b32 v31, v5, v5, 7
	v_alignbit_b32 v32, v5, v5, 18
	;; [unrolled: 1-line block ×4, first 2 shown]
	v_xor3_b32 v7, v7, v23, v25
	v_xor3_b32 v23, v27, v29, v30
	v_lshrrev_b32_e32 v33, 3, v5
	v_lshrrev_b32_e32 v36, 3, v6
	v_xor_b32_e32 v25, v31, v32
	v_xor_b32_e32 v27, v34, v35
	v_add3_u32 v7, v28, v8, v7
	v_add3_u32 v8, v24, v9, v23
	s_or_b32 s3, vcc_lo, s3
	v_xad_u32 v23, v25, v33, v4
	v_xad_u32 v24, v27, v36, v5
	v_alignbit_b32 v9, v7, v7, 17
	v_alignbit_b32 v25, v7, v7, 19
	v_lshrrev_b32_e32 v27, 10, v7
	v_alignbit_b32 v28, v8, v8, 17
	v_alignbit_b32 v29, v8, v8, 19
	v_lshrrev_b32_e32 v30, 10, v8
	v_alignbit_b32 v31, v7, v7, 7
	v_alignbit_b32 v32, v7, v7, 18
	;; [unrolled: 1-line block ×4, first 2 shown]
	v_xor3_b32 v9, v9, v25, v27
	v_xor3_b32 v25, v28, v29, v30
	v_lshrrev_b32_e32 v33, 3, v7
	v_lshrrev_b32_e32 v36, 3, v8
	v_xor_b32_e32 v27, v31, v32
	v_xor_b32_e32 v28, v34, v35
	v_add3_u32 v9, v26, v10, v9
	v_add3_u32 v10, v12, v3, v25
	s_clause 0x1
	global_store_b128 v[15:16], v[3:6], off offset:-156
	global_store_b128 v[15:16], v[7:10], off offset:-140
	v_xad_u32 v12, v27, v33, v6
	v_xad_u32 v25, v28, v36, v7
	v_alignbit_b32 v3, v9, v9, 17
	v_alignbit_b32 v26, v9, v9, 19
	v_lshrrev_b32_e32 v27, 10, v9
	v_alignbit_b32 v28, v10, v10, 17
	v_alignbit_b32 v29, v10, v10, 19
	v_lshrrev_b32_e32 v30, 10, v10
	v_alignbit_b32 v31, v9, v9, 7
	v_alignbit_b32 v32, v9, v9, 18
	v_alignbit_b32 v34, v10, v10, 7
	v_alignbit_b32 v35, v10, v10, 18
	v_xor3_b32 v3, v3, v26, v27
	v_xor3_b32 v26, v28, v29, v30
	v_lshrrev_b32_e32 v33, 3, v9
	v_lshrrev_b32_e32 v36, 3, v10
	v_xor_b32_e32 v27, v31, v32
	v_xor_b32_e32 v28, v34, v35
	v_add3_u32 v3, v19, v4, v3
	v_add3_u32 v4, v0, v5, v26
	s_delay_alu instid0(VALU_DEP_4) | instskip(NEXT) | instid1(VALU_DEP_4)
	v_xad_u32 v0, v27, v33, v8
	v_xad_u32 v19, v28, v36, v9
	s_delay_alu instid0(VALU_DEP_4)
	v_alignbit_b32 v5, v3, v3, 17
	v_alignbit_b32 v26, v3, v3, 19
	v_lshrrev_b32_e32 v27, 10, v3
	v_alignbit_b32 v28, v4, v4, 17
	v_alignbit_b32 v29, v4, v4, 19
	v_lshrrev_b32_e32 v30, 10, v4
	v_alignbit_b32 v31, v3, v3, 7
	v_alignbit_b32 v32, v3, v3, 18
	v_alignbit_b32 v34, v4, v4, 7
	v_alignbit_b32 v35, v4, v4, 18
	v_xor3_b32 v5, v5, v26, v27
	v_xor3_b32 v26, v28, v29, v30
	v_lshrrev_b32_e32 v33, 3, v3
	v_lshrrev_b32_e32 v36, 3, v4
	v_xor_b32_e32 v27, v31, v32
	v_xor_b32_e32 v28, v34, v35
	v_add3_u32 v5, v1, v6, v5
	v_add3_u32 v6, v14, v7, v26
	s_delay_alu instid0(VALU_DEP_4) | instskip(NEXT) | instid1(VALU_DEP_4)
	v_xad_u32 v1, v27, v33, v10
	v_xad_u32 v14, v28, v36, v3
	s_delay_alu instid0(VALU_DEP_4)
	;; [unrolled: 22-line block ×3, first 2 shown]
	v_alignbit_b32 v9, v7, v7, 17
	v_alignbit_b32 v26, v7, v7, 19
	v_lshrrev_b32_e32 v27, 10, v7
	v_alignbit_b32 v28, v8, v8, 17
	v_alignbit_b32 v29, v8, v8, 19
	v_lshrrev_b32_e32 v30, 10, v8
	v_alignbit_b32 v31, v7, v7, 7
	v_alignbit_b32 v32, v7, v7, 18
	;; [unrolled: 1-line block ×4, first 2 shown]
	v_xor3_b32 v9, v9, v26, v27
	v_xor3_b32 v26, v28, v29, v30
	v_lshrrev_b32_e32 v33, 3, v7
	v_lshrrev_b32_e32 v36, 3, v8
	v_xor_b32_e32 v27, v31, v32
	v_xor_b32_e32 v28, v34, v35
	v_add3_u32 v9, v21, v10, v9
	v_add3_u32 v10, v11, v3, v26
	s_clause 0x1
	global_store_b128 v[15:16], v[3:6], off offset:-124
	global_store_b128 v[15:16], v[7:10], off offset:-108
	v_xad_u32 v11, v27, v33, v6
	v_xad_u32 v21, v28, v36, v7
	v_alignbit_b32 v3, v9, v9, 17
	v_alignbit_b32 v26, v9, v9, 19
	v_lshrrev_b32_e32 v27, 10, v9
	v_alignbit_b32 v28, v10, v10, 17
	v_alignbit_b32 v29, v10, v10, 19
	v_lshrrev_b32_e32 v30, 10, v10
	v_alignbit_b32 v31, v9, v9, 7
	v_alignbit_b32 v32, v9, v9, 18
	v_alignbit_b32 v34, v10, v10, 7
	v_alignbit_b32 v35, v10, v10, 18
	v_xor3_b32 v3, v3, v26, v27
	v_xor3_b32 v26, v28, v29, v30
	v_lshrrev_b32_e32 v33, 3, v9
	v_lshrrev_b32_e32 v36, 3, v10
	v_xor_b32_e32 v27, v31, v32
	v_xor_b32_e32 v28, v34, v35
	v_add3_u32 v3, v22, v4, v3
	v_add3_u32 v4, v23, v5, v26
	s_delay_alu instid0(VALU_DEP_4) | instskip(NEXT) | instid1(VALU_DEP_4)
	v_xad_u32 v22, v27, v33, v8
	v_xad_u32 v23, v28, v36, v9
	s_delay_alu instid0(VALU_DEP_4)
	v_alignbit_b32 v5, v3, v3, 17
	v_alignbit_b32 v26, v3, v3, 19
	v_lshrrev_b32_e32 v27, 10, v3
	v_alignbit_b32 v28, v4, v4, 17
	v_alignbit_b32 v29, v4, v4, 19
	v_lshrrev_b32_e32 v30, 10, v4
	v_alignbit_b32 v31, v3, v3, 7
	v_alignbit_b32 v32, v3, v3, 18
	v_alignbit_b32 v34, v4, v4, 7
	v_alignbit_b32 v35, v4, v4, 18
	v_xor3_b32 v5, v5, v26, v27
	v_xor3_b32 v26, v28, v29, v30
	v_lshrrev_b32_e32 v33, 3, v3
	v_lshrrev_b32_e32 v36, 3, v4
	v_xor_b32_e32 v27, v31, v32
	v_xor_b32_e32 v28, v34, v35
	v_add3_u32 v5, v24, v6, v5
	v_add3_u32 v6, v12, v7, v26
	s_delay_alu instid0(VALU_DEP_4) | instskip(NEXT) | instid1(VALU_DEP_4)
	v_xad_u32 v12, v27, v33, v10
	v_xad_u32 v24, v28, v36, v3
	s_delay_alu instid0(VALU_DEP_4)
	;; [unrolled: 22-line block ×3, first 2 shown]
	v_alignbit_b32 v9, v7, v7, 17
	v_alignbit_b32 v26, v7, v7, 19
	v_lshrrev_b32_e32 v27, 10, v7
	v_alignbit_b32 v28, v8, v8, 17
	v_alignbit_b32 v29, v8, v8, 19
	v_lshrrev_b32_e32 v30, 10, v8
	v_alignbit_b32 v31, v7, v7, 7
	v_alignbit_b32 v32, v7, v7, 18
	v_alignbit_b32 v34, v8, v8, 7
	v_alignbit_b32 v35, v8, v8, 18
	v_xor3_b32 v9, v9, v26, v27
	v_xor3_b32 v26, v28, v29, v30
	v_lshrrev_b32_e32 v33, 3, v7
	v_lshrrev_b32_e32 v36, 3, v8
	v_xor_b32_e32 v27, v31, v32
	v_xor_b32_e32 v28, v34, v35
	v_add3_u32 v9, v19, v10, v9
	v_add3_u32 v10, v1, v3, v26
	s_clause 0x1
	global_store_b128 v[15:16], v[3:6], off offset:-92
	global_store_b128 v[15:16], v[7:10], off offset:-76
	v_xad_u32 v1, v27, v33, v6
	v_xad_u32 v19, v28, v36, v7
	v_alignbit_b32 v3, v9, v9, 17
	v_alignbit_b32 v26, v9, v9, 19
	v_lshrrev_b32_e32 v27, 10, v9
	v_alignbit_b32 v28, v10, v10, 17
	v_alignbit_b32 v29, v10, v10, 19
	v_lshrrev_b32_e32 v30, 10, v10
	v_alignbit_b32 v31, v9, v9, 7
	v_alignbit_b32 v32, v9, v9, 18
	;; [unrolled: 1-line block ×4, first 2 shown]
	v_xor3_b32 v3, v3, v26, v27
	v_xor3_b32 v26, v28, v29, v30
	v_lshrrev_b32_e32 v33, 3, v9
	v_lshrrev_b32_e32 v36, 3, v10
	v_xor_b32_e32 v27, v31, v32
	v_xor_b32_e32 v28, v34, v35
	v_add3_u32 v3, v14, v4, v3
	v_add3_u32 v4, v13, v5, v26
	s_delay_alu instid0(VALU_DEP_4) | instskip(NEXT) | instid1(VALU_DEP_4)
	v_xad_u32 v13, v27, v33, v8
	v_xad_u32 v14, v28, v36, v9
	s_delay_alu instid0(VALU_DEP_4)
	v_alignbit_b32 v5, v3, v3, 17
	v_alignbit_b32 v26, v3, v3, 19
	v_lshrrev_b32_e32 v27, 10, v3
	v_alignbit_b32 v28, v4, v4, 17
	v_alignbit_b32 v29, v4, v4, 19
	v_lshrrev_b32_e32 v30, 10, v4
	v_alignbit_b32 v31, v3, v3, 7
	v_alignbit_b32 v32, v3, v3, 18
	v_xor3_b32 v5, v5, v26, v27
	v_lshrrev_b32_e32 v33, 3, v3
	v_xor3_b32 v26, v28, v29, v30
	s_delay_alu instid0(VALU_DEP_4) | instskip(NEXT) | instid1(VALU_DEP_4)
	v_xor_b32_e32 v27, v31, v32
	v_add3_u32 v5, v20, v6, v5
	s_delay_alu instid0(VALU_DEP_3) | instskip(NEXT) | instid1(VALU_DEP_3)
	v_add3_u32 v6, v11, v7, v26
	v_xad_u32 v11, v27, v33, v10
	s_delay_alu instid0(VALU_DEP_3)
	v_alignbit_b32 v7, v5, v5, 17
	v_alignbit_b32 v20, v5, v5, 19
	v_lshrrev_b32_e32 v26, 10, v5
	v_alignbit_b32 v27, v6, v6, 17
	v_alignbit_b32 v28, v6, v6, 19
	v_lshrrev_b32_e32 v29, 10, v6
	s_delay_alu instid0(VALU_DEP_4) | instskip(NEXT) | instid1(VALU_DEP_2)
	v_xor3_b32 v7, v7, v20, v26
	v_xor3_b32 v20, v27, v28, v29
	s_delay_alu instid0(VALU_DEP_2) | instskip(NEXT) | instid1(VALU_DEP_2)
	v_add3_u32 v7, v21, v8, v7
	v_add3_u32 v8, v22, v9, v20
	s_delay_alu instid0(VALU_DEP_2) | instskip(SKIP_2) | instid1(VALU_DEP_4)
	v_alignbit_b32 v9, v7, v7, 17
	v_alignbit_b32 v20, v7, v7, 19
	v_lshrrev_b32_e32 v21, 10, v7
	v_alignbit_b32 v22, v8, v8, 17
	v_alignbit_b32 v26, v8, v8, 19
	v_lshrrev_b32_e32 v27, 10, v8
	s_delay_alu instid0(VALU_DEP_4) | instskip(NEXT) | instid1(VALU_DEP_2)
	v_xor3_b32 v9, v9, v20, v21
	v_xor3_b32 v20, v22, v26, v27
	s_delay_alu instid0(VALU_DEP_2) | instskip(NEXT) | instid1(VALU_DEP_2)
	v_add3_u32 v9, v23, v10, v9
	v_add3_u32 v10, v12, v3, v20
	global_store_b128 v[15:16], v[3:6], off offset:-60
	v_alignbit_b32 v3, v9, v9, 17
	v_alignbit_b32 v12, v9, v9, 19
	v_lshrrev_b32_e32 v20, 10, v9
	global_store_b128 v[15:16], v[7:10], off offset:-44
	v_alignbit_b32 v21, v10, v10, 17
	v_alignbit_b32 v22, v10, v10, 19
	v_lshrrev_b32_e32 v23, 10, v10
	v_xor3_b32 v3, v3, v12, v20
	s_delay_alu instid0(VALU_DEP_2) | instskip(NEXT) | instid1(VALU_DEP_2)
	v_xor3_b32 v12, v21, v22, v23
	v_add3_u32 v3, v24, v4, v3
	s_delay_alu instid0(VALU_DEP_2) | instskip(NEXT) | instid1(VALU_DEP_2)
	v_add3_u32 v4, v0, v5, v12
	v_alignbit_b32 v0, v3, v3, 17
	v_alignbit_b32 v5, v3, v3, 19
	v_lshrrev_b32_e32 v12, 10, v3
	s_delay_alu instid0(VALU_DEP_4) | instskip(SKIP_2) | instid1(VALU_DEP_4)
	v_alignbit_b32 v20, v4, v4, 17
	v_alignbit_b32 v21, v4, v4, 19
	v_lshrrev_b32_e32 v22, 10, v4
	v_xor3_b32 v0, v0, v5, v12
	s_delay_alu instid0(VALU_DEP_2) | instskip(NEXT) | instid1(VALU_DEP_2)
	v_xor3_b32 v12, v20, v21, v22
	v_add3_u32 v5, v25, v6, v0
	s_delay_alu instid0(VALU_DEP_2) | instskip(NEXT) | instid1(VALU_DEP_2)
	v_add3_u32 v6, v1, v7, v12
	v_alignbit_b32 v0, v5, v5, 17
	v_alignbit_b32 v1, v5, v5, 19
	v_lshrrev_b32_e32 v7, 10, v5
	s_delay_alu instid0(VALU_DEP_4) | instskip(SKIP_2) | instid1(VALU_DEP_4)
	v_alignbit_b32 v12, v6, v6, 17
	v_alignbit_b32 v20, v6, v6, 19
	v_lshrrev_b32_e32 v21, 10, v6
	v_xor3_b32 v0, v0, v1, v7
	s_delay_alu instid0(VALU_DEP_2) | instskip(NEXT) | instid1(VALU_DEP_2)
	v_xor3_b32 v1, v12, v20, v21
	v_add3_u32 v7, v19, v8, v0
	s_delay_alu instid0(VALU_DEP_2) | instskip(NEXT) | instid1(VALU_DEP_2)
	v_add3_u32 v8, v13, v9, v1
	v_alignbit_b32 v0, v7, v7, 17
	v_alignbit_b32 v1, v7, v7, 19
	v_lshrrev_b32_e32 v9, 10, v7
	s_delay_alu instid0(VALU_DEP_4) | instskip(SKIP_2) | instid1(VALU_DEP_4)
	v_alignbit_b32 v12, v8, v8, 17
	v_alignbit_b32 v13, v8, v8, 19
	v_lshrrev_b32_e32 v19, 10, v8
	v_xor3_b32 v0, v0, v1, v9
	s_delay_alu instid0(VALU_DEP_2) | instskip(NEXT) | instid1(VALU_DEP_2)
	v_xor3_b32 v1, v12, v13, v19
	v_add3_u32 v9, v14, v10, v0
	s_delay_alu instid0(VALU_DEP_2) | instskip(SKIP_4) | instid1(VALU_DEP_1)
	v_add3_u32 v10, v11, v3, v1
	s_clause 0x1
	global_store_b128 v[15:16], v[3:6], off offset:-28
	global_store_b128 v[15:16], v[7:10], off offset:-12
	v_add_co_u32 v15, s0, v15, s8
	v_add_co_ci_u32_e64 v16, s0, s9, v16, s0
	s_and_not1_b32 exec_lo, exec_lo, s3
	s_cbranch_execnz .LBB0_2
.LBB0_3:
	s_nop 0
	s_sendmsg sendmsg(MSG_DEALLOC_VGPRS)
	s_endpgm
	.section	.rodata,"a",@progbits
	.p2align	6, 0x0
	.amdhsa_kernel _Z14kernel_w_blockPKhS0_Pj
		.amdhsa_group_segment_fixed_size 0
		.amdhsa_private_segment_fixed_size 0
		.amdhsa_kernarg_size 280
		.amdhsa_user_sgpr_count 15
		.amdhsa_user_sgpr_dispatch_ptr 0
		.amdhsa_user_sgpr_queue_ptr 0
		.amdhsa_user_sgpr_kernarg_segment_ptr 1
		.amdhsa_user_sgpr_dispatch_id 0
		.amdhsa_user_sgpr_private_segment_size 0
		.amdhsa_wavefront_size32 1
		.amdhsa_uses_dynamic_stack 0
		.amdhsa_enable_private_segment 0
		.amdhsa_system_sgpr_workgroup_id_x 1
		.amdhsa_system_sgpr_workgroup_id_y 0
		.amdhsa_system_sgpr_workgroup_id_z 0
		.amdhsa_system_sgpr_workgroup_info 0
		.amdhsa_system_vgpr_workitem_id 0
		.amdhsa_next_free_vgpr 48
		.amdhsa_next_free_sgpr 32
		.amdhsa_reserve_vcc 1
		.amdhsa_float_round_mode_32 0
		.amdhsa_float_round_mode_16_64 0
		.amdhsa_float_denorm_mode_32 3
		.amdhsa_float_denorm_mode_16_64 3
		.amdhsa_dx10_clamp 1
		.amdhsa_ieee_mode 1
		.amdhsa_fp16_overflow 0
		.amdhsa_workgroup_processor_mode 1
		.amdhsa_memory_ordered 1
		.amdhsa_forward_progress 0
		.amdhsa_shared_vgpr_count 0
		.amdhsa_exception_fp_ieee_invalid_op 0
		.amdhsa_exception_fp_denorm_src 0
		.amdhsa_exception_fp_ieee_div_zero 0
		.amdhsa_exception_fp_ieee_overflow 0
		.amdhsa_exception_fp_ieee_underflow 0
		.amdhsa_exception_fp_ieee_inexact 0
		.amdhsa_exception_int_div_zero 0
	.end_amdhsa_kernel
	.text
.Lfunc_end0:
	.size	_Z14kernel_w_blockPKhS0_Pj, .Lfunc_end0-_Z14kernel_w_blockPKhS0_Pj
                                        ; -- End function
	.section	.AMDGPU.csdata,"",@progbits
; Kernel info:
; codeLenInByte = 4480
; NumSgprs: 34
; NumVgprs: 48
; ScratchSize: 0
; MemoryBound: 0
; FloatMode: 240
; IeeeMode: 1
; LDSByteSize: 0 bytes/workgroup (compile time only)
; SGPRBlocks: 4
; VGPRBlocks: 5
; NumSGPRsForWavesPerEU: 34
; NumVGPRsForWavesPerEU: 48
; Occupancy: 16
; WaveLimiterHint : 0
; COMPUTE_PGM_RSRC2:SCRATCH_EN: 0
; COMPUTE_PGM_RSRC2:USER_SGPR: 15
; COMPUTE_PGM_RSRC2:TRAP_HANDLER: 0
; COMPUTE_PGM_RSRC2:TGID_X_EN: 1
; COMPUTE_PGM_RSRC2:TGID_Y_EN: 0
; COMPUTE_PGM_RSRC2:TGID_Z_EN: 0
; COMPUTE_PGM_RSRC2:TIDIG_COMP_CNT: 0
	.text
	.p2alignl 7, 3214868480
	.fill 96, 4, 3214868480
	.type	__hip_cuid_f9dd4a2e7e7b8259,@object ; @__hip_cuid_f9dd4a2e7e7b8259
	.section	.bss,"aw",@nobits
	.globl	__hip_cuid_f9dd4a2e7e7b8259
__hip_cuid_f9dd4a2e7e7b8259:
	.byte	0                               ; 0x0
	.size	__hip_cuid_f9dd4a2e7e7b8259, 1

	.ident	"AMD clang version 19.0.0git (https://github.com/RadeonOpenCompute/llvm-project roc-6.4.0 25133 c7fe45cf4b819c5991fe208aaa96edf142730f1d)"
	.section	".note.GNU-stack","",@progbits
	.addrsig
	.addrsig_sym __hip_cuid_f9dd4a2e7e7b8259
	.amdgpu_metadata
---
amdhsa.kernels:
  - .args:
      - .address_space:  global
        .offset:         0
        .size:           8
        .value_kind:     global_buffer
      - .address_space:  global
        .offset:         8
        .size:           8
        .value_kind:     global_buffer
      - .address_space:  global
        .offset:         16
        .size:           8
        .value_kind:     global_buffer
      - .offset:         24
        .size:           4
        .value_kind:     hidden_block_count_x
      - .offset:         28
        .size:           4
        .value_kind:     hidden_block_count_y
      - .offset:         32
        .size:           4
        .value_kind:     hidden_block_count_z
      - .offset:         36
        .size:           2
        .value_kind:     hidden_group_size_x
      - .offset:         38
        .size:           2
        .value_kind:     hidden_group_size_y
      - .offset:         40
        .size:           2
        .value_kind:     hidden_group_size_z
      - .offset:         42
        .size:           2
        .value_kind:     hidden_remainder_x
      - .offset:         44
        .size:           2
        .value_kind:     hidden_remainder_y
      - .offset:         46
        .size:           2
        .value_kind:     hidden_remainder_z
      - .offset:         64
        .size:           8
        .value_kind:     hidden_global_offset_x
      - .offset:         72
        .size:           8
        .value_kind:     hidden_global_offset_y
      - .offset:         80
        .size:           8
        .value_kind:     hidden_global_offset_z
      - .offset:         88
        .size:           2
        .value_kind:     hidden_grid_dims
    .group_segment_fixed_size: 0
    .kernarg_segment_align: 8
    .kernarg_segment_size: 280
    .language:       OpenCL C
    .language_version:
      - 2
      - 0
    .max_flat_workgroup_size: 1024
    .name:           _Z14kernel_w_blockPKhS0_Pj
    .private_segment_fixed_size: 0
    .sgpr_count:     34
    .sgpr_spill_count: 0
    .symbol:         _Z14kernel_w_blockPKhS0_Pj.kd
    .uniform_work_group_size: 1
    .uses_dynamic_stack: false
    .vgpr_count:     48
    .vgpr_spill_count: 0
    .wavefront_size: 32
    .workgroup_processor_mode: 1
amdhsa.target:   amdgcn-amd-amdhsa--gfx1100
amdhsa.version:
  - 1
  - 2
...

	.end_amdgpu_metadata
